;; amdgpu-corpus repo=ROCm/rocFFT kind=compiled arch=gfx906 opt=O3
	.text
	.amdgcn_target "amdgcn-amd-amdhsa--gfx906"
	.amdhsa_code_object_version 6
	.protected	fft_rtc_back_len702_factors_13_3_6_3_wgs_117_tpt_117_halfLds_half_ip_CI_unitstride_sbrr_R2C_dirReg ; -- Begin function fft_rtc_back_len702_factors_13_3_6_3_wgs_117_tpt_117_halfLds_half_ip_CI_unitstride_sbrr_R2C_dirReg
	.globl	fft_rtc_back_len702_factors_13_3_6_3_wgs_117_tpt_117_halfLds_half_ip_CI_unitstride_sbrr_R2C_dirReg
	.p2align	8
	.type	fft_rtc_back_len702_factors_13_3_6_3_wgs_117_tpt_117_halfLds_half_ip_CI_unitstride_sbrr_R2C_dirReg,@function
fft_rtc_back_len702_factors_13_3_6_3_wgs_117_tpt_117_halfLds_half_ip_CI_unitstride_sbrr_R2C_dirReg: ; @fft_rtc_back_len702_factors_13_3_6_3_wgs_117_tpt_117_halfLds_half_ip_CI_unitstride_sbrr_R2C_dirReg
; %bb.0:
	s_load_dwordx2 s[2:3], s[4:5], 0x50
	s_load_dwordx4 s[8:11], s[4:5], 0x0
	s_load_dwordx2 s[12:13], s[4:5], 0x18
	v_mul_u32_u24_e32 v1, 0x231, v0
	v_add_u32_sdwa v5, s6, v1 dst_sel:DWORD dst_unused:UNUSED_PAD src0_sel:DWORD src1_sel:WORD_1
	v_mov_b32_e32 v3, 0
	s_waitcnt lgkmcnt(0)
	v_cmp_lt_u64_e64 s[0:1], s[10:11], 2
	v_mov_b32_e32 v1, 0
	v_mov_b32_e32 v6, v3
	s_and_b64 vcc, exec, s[0:1]
	v_mov_b32_e32 v2, 0
	s_cbranch_vccnz .LBB0_8
; %bb.1:
	s_load_dwordx2 s[0:1], s[4:5], 0x10
	s_add_u32 s6, s12, 8
	s_addc_u32 s7, s13, 0
	v_mov_b32_e32 v1, 0
	v_mov_b32_e32 v2, 0
	s_waitcnt lgkmcnt(0)
	s_add_u32 s14, s0, 8
	s_addc_u32 s15, s1, 0
	s_mov_b64 s[16:17], 1
.LBB0_2:                                ; =>This Inner Loop Header: Depth=1
	s_load_dwordx2 s[18:19], s[14:15], 0x0
                                        ; implicit-def: $vgpr7_vgpr8
	s_waitcnt lgkmcnt(0)
	v_or_b32_e32 v4, s19, v6
	v_cmp_ne_u64_e32 vcc, 0, v[3:4]
	s_and_saveexec_b64 s[0:1], vcc
	s_xor_b64 s[20:21], exec, s[0:1]
	s_cbranch_execz .LBB0_4
; %bb.3:                                ;   in Loop: Header=BB0_2 Depth=1
	v_cvt_f32_u32_e32 v4, s18
	v_cvt_f32_u32_e32 v7, s19
	s_sub_u32 s0, 0, s18
	s_subb_u32 s1, 0, s19
	v_mac_f32_e32 v4, 0x4f800000, v7
	v_rcp_f32_e32 v4, v4
	v_mul_f32_e32 v4, 0x5f7ffffc, v4
	v_mul_f32_e32 v7, 0x2f800000, v4
	v_trunc_f32_e32 v7, v7
	v_mac_f32_e32 v4, 0xcf800000, v7
	v_cvt_u32_f32_e32 v7, v7
	v_cvt_u32_f32_e32 v4, v4
	v_mul_lo_u32 v8, s0, v7
	v_mul_hi_u32 v9, s0, v4
	v_mul_lo_u32 v11, s1, v4
	v_mul_lo_u32 v10, s0, v4
	v_add_u32_e32 v8, v9, v8
	v_add_u32_e32 v8, v8, v11
	v_mul_hi_u32 v9, v4, v10
	v_mul_lo_u32 v11, v4, v8
	v_mul_hi_u32 v13, v4, v8
	v_mul_hi_u32 v12, v7, v10
	v_mul_lo_u32 v10, v7, v10
	v_mul_hi_u32 v14, v7, v8
	v_add_co_u32_e32 v9, vcc, v9, v11
	v_addc_co_u32_e32 v11, vcc, 0, v13, vcc
	v_mul_lo_u32 v8, v7, v8
	v_add_co_u32_e32 v9, vcc, v9, v10
	v_addc_co_u32_e32 v9, vcc, v11, v12, vcc
	v_addc_co_u32_e32 v10, vcc, 0, v14, vcc
	v_add_co_u32_e32 v8, vcc, v9, v8
	v_addc_co_u32_e32 v9, vcc, 0, v10, vcc
	v_add_co_u32_e32 v4, vcc, v4, v8
	v_addc_co_u32_e32 v7, vcc, v7, v9, vcc
	v_mul_lo_u32 v8, s0, v7
	v_mul_hi_u32 v9, s0, v4
	v_mul_lo_u32 v10, s1, v4
	v_mul_lo_u32 v11, s0, v4
	v_add_u32_e32 v8, v9, v8
	v_add_u32_e32 v8, v8, v10
	v_mul_lo_u32 v12, v4, v8
	v_mul_hi_u32 v13, v4, v11
	v_mul_hi_u32 v14, v4, v8
	;; [unrolled: 1-line block ×3, first 2 shown]
	v_mul_lo_u32 v11, v7, v11
	v_mul_hi_u32 v9, v7, v8
	v_add_co_u32_e32 v12, vcc, v13, v12
	v_addc_co_u32_e32 v13, vcc, 0, v14, vcc
	v_mul_lo_u32 v8, v7, v8
	v_add_co_u32_e32 v11, vcc, v12, v11
	v_addc_co_u32_e32 v10, vcc, v13, v10, vcc
	v_addc_co_u32_e32 v9, vcc, 0, v9, vcc
	v_add_co_u32_e32 v8, vcc, v10, v8
	v_addc_co_u32_e32 v9, vcc, 0, v9, vcc
	v_add_co_u32_e32 v4, vcc, v4, v8
	v_addc_co_u32_e32 v9, vcc, v7, v9, vcc
	v_mad_u64_u32 v[7:8], s[0:1], v5, v9, 0
	v_mul_hi_u32 v10, v5, v4
	v_add_co_u32_e32 v11, vcc, v10, v7
	v_addc_co_u32_e32 v12, vcc, 0, v8, vcc
	v_mad_u64_u32 v[7:8], s[0:1], v6, v4, 0
	v_mad_u64_u32 v[9:10], s[0:1], v6, v9, 0
	v_add_co_u32_e32 v4, vcc, v11, v7
	v_addc_co_u32_e32 v4, vcc, v12, v8, vcc
	v_addc_co_u32_e32 v7, vcc, 0, v10, vcc
	v_add_co_u32_e32 v4, vcc, v4, v9
	v_addc_co_u32_e32 v9, vcc, 0, v7, vcc
	v_mul_lo_u32 v10, s19, v4
	v_mul_lo_u32 v11, s18, v9
	v_mad_u64_u32 v[7:8], s[0:1], s18, v4, 0
	v_add3_u32 v8, v8, v11, v10
	v_sub_u32_e32 v10, v6, v8
	v_mov_b32_e32 v11, s19
	v_sub_co_u32_e32 v7, vcc, v5, v7
	v_subb_co_u32_e64 v10, s[0:1], v10, v11, vcc
	v_subrev_co_u32_e64 v11, s[0:1], s18, v7
	v_subbrev_co_u32_e64 v10, s[0:1], 0, v10, s[0:1]
	v_cmp_le_u32_e64 s[0:1], s19, v10
	v_cndmask_b32_e64 v12, 0, -1, s[0:1]
	v_cmp_le_u32_e64 s[0:1], s18, v11
	v_cndmask_b32_e64 v11, 0, -1, s[0:1]
	v_cmp_eq_u32_e64 s[0:1], s19, v10
	v_cndmask_b32_e64 v10, v12, v11, s[0:1]
	v_add_co_u32_e64 v11, s[0:1], 2, v4
	v_addc_co_u32_e64 v12, s[0:1], 0, v9, s[0:1]
	v_add_co_u32_e64 v13, s[0:1], 1, v4
	v_addc_co_u32_e64 v14, s[0:1], 0, v9, s[0:1]
	v_subb_co_u32_e32 v8, vcc, v6, v8, vcc
	v_cmp_ne_u32_e64 s[0:1], 0, v10
	v_cmp_le_u32_e32 vcc, s19, v8
	v_cndmask_b32_e64 v10, v14, v12, s[0:1]
	v_cndmask_b32_e64 v12, 0, -1, vcc
	v_cmp_le_u32_e32 vcc, s18, v7
	v_cndmask_b32_e64 v7, 0, -1, vcc
	v_cmp_eq_u32_e32 vcc, s19, v8
	v_cndmask_b32_e32 v7, v12, v7, vcc
	v_cmp_ne_u32_e32 vcc, 0, v7
	v_cndmask_b32_e64 v7, v13, v11, s[0:1]
	v_cndmask_b32_e32 v8, v9, v10, vcc
	v_cndmask_b32_e32 v7, v4, v7, vcc
.LBB0_4:                                ;   in Loop: Header=BB0_2 Depth=1
	s_andn2_saveexec_b64 s[0:1], s[20:21]
	s_cbranch_execz .LBB0_6
; %bb.5:                                ;   in Loop: Header=BB0_2 Depth=1
	v_cvt_f32_u32_e32 v4, s18
	s_sub_i32 s20, 0, s18
	v_rcp_iflag_f32_e32 v4, v4
	v_mul_f32_e32 v4, 0x4f7ffffe, v4
	v_cvt_u32_f32_e32 v4, v4
	v_mul_lo_u32 v7, s20, v4
	v_mul_hi_u32 v7, v4, v7
	v_add_u32_e32 v4, v4, v7
	v_mul_hi_u32 v4, v5, v4
	v_mul_lo_u32 v7, v4, s18
	v_add_u32_e32 v8, 1, v4
	v_sub_u32_e32 v7, v5, v7
	v_subrev_u32_e32 v9, s18, v7
	v_cmp_le_u32_e32 vcc, s18, v7
	v_cndmask_b32_e32 v7, v7, v9, vcc
	v_cndmask_b32_e32 v4, v4, v8, vcc
	v_add_u32_e32 v8, 1, v4
	v_cmp_le_u32_e32 vcc, s18, v7
	v_cndmask_b32_e32 v7, v4, v8, vcc
	v_mov_b32_e32 v8, v3
.LBB0_6:                                ;   in Loop: Header=BB0_2 Depth=1
	s_or_b64 exec, exec, s[0:1]
	v_mul_lo_u32 v4, v8, s18
	v_mul_lo_u32 v11, v7, s19
	v_mad_u64_u32 v[9:10], s[0:1], v7, s18, 0
	s_load_dwordx2 s[0:1], s[6:7], 0x0
	s_add_u32 s16, s16, 1
	v_add3_u32 v4, v10, v11, v4
	v_sub_co_u32_e32 v5, vcc, v5, v9
	v_subb_co_u32_e32 v4, vcc, v6, v4, vcc
	s_waitcnt lgkmcnt(0)
	v_mul_lo_u32 v4, s0, v4
	v_mul_lo_u32 v6, s1, v5
	v_mad_u64_u32 v[1:2], s[0:1], s0, v5, v[1:2]
	s_addc_u32 s17, s17, 0
	s_add_u32 s6, s6, 8
	v_add3_u32 v2, v6, v2, v4
	v_mov_b32_e32 v4, s10
	v_mov_b32_e32 v5, s11
	s_addc_u32 s7, s7, 0
	v_cmp_ge_u64_e32 vcc, s[16:17], v[4:5]
	s_add_u32 s14, s14, 8
	s_addc_u32 s15, s15, 0
	s_cbranch_vccnz .LBB0_9
; %bb.7:                                ;   in Loop: Header=BB0_2 Depth=1
	v_mov_b32_e32 v5, v7
	v_mov_b32_e32 v6, v8
	s_branch .LBB0_2
.LBB0_8:
	v_mov_b32_e32 v8, v6
	v_mov_b32_e32 v7, v5
.LBB0_9:
	s_lshl_b64 s[0:1], s[10:11], 3
	s_add_u32 s0, s12, s0
	s_addc_u32 s1, s13, s1
	s_load_dwordx2 s[6:7], s[0:1], 0x0
	s_load_dwordx2 s[10:11], s[4:5], 0x20
	s_waitcnt lgkmcnt(0)
	v_mad_u64_u32 v[1:2], s[0:1], s6, v7, v[1:2]
	s_mov_b32 s0, 0x2302303
	v_mul_lo_u32 v3, s6, v8
	v_mul_lo_u32 v4, s7, v7
	v_mul_hi_u32 v5, v0, s0
	v_cmp_gt_u64_e32 vcc, s[10:11], v[7:8]
	v_add3_u32 v2, v4, v2, v3
	v_mul_u32_u24_e32 v3, 0x75, v5
	v_sub_u32_e32 v0, v0, v3
	v_lshlrev_b64 v[2:3], 2, v[1:2]
	v_lshl_add_u32 v16, v0, 2, 0
	s_and_saveexec_b64 s[4:5], vcc
	s_cbranch_execz .LBB0_11
; %bb.10:
	v_mov_b32_e32 v1, 0
	v_mov_b32_e32 v4, s3
	v_add_co_u32_e64 v6, s[0:1], s2, v2
	v_addc_co_u32_e64 v7, s[0:1], v4, v3, s[0:1]
	v_lshlrev_b64 v[4:5], 2, v[0:1]
	v_add_co_u32_e64 v4, s[0:1], v6, v4
	v_addc_co_u32_e64 v5, s[0:1], v7, v5, s[0:1]
	global_load_dword v1, v[4:5], off
	global_load_dword v6, v[4:5], off offset:468
	global_load_dword v7, v[4:5], off offset:936
	;; [unrolled: 1-line block ×5, first 2 shown]
	v_add_u32_e32 v4, 0x200, v16
	v_add_u32_e32 v5, 0x600, v16
	s_waitcnt vmcnt(4)
	ds_write2_b32 v16, v1, v6 offset1:117
	s_waitcnt vmcnt(2)
	ds_write2_b32 v4, v7, v8 offset0:106 offset1:223
	s_waitcnt vmcnt(0)
	ds_write2_b32 v5, v9, v10 offset0:84 offset1:201
.LBB0_11:
	s_or_b64 exec, exec, s[4:5]
	v_add_u32_e32 v1, 0x200, v16
	v_add_u32_e32 v12, 0x400, v16
	;; [unrolled: 1-line block ×3, first 2 shown]
	s_waitcnt lgkmcnt(0)
	s_barrier
	ds_read2_b32 v[4:5], v16 offset1:54
	ds_read2_b32 v[10:11], v16 offset0:108 offset1:162
	ds_read2_b32 v[6:7], v1 offset0:88 offset1:142
	;; [unrolled: 1-line block ×5, first 2 shown]
	ds_read_b32 v17, v16 offset:2592
	v_cmp_gt_u32_e64 s[0:1], 54, v0
	s_waitcnt lgkmcnt(0)
	s_barrier
	s_and_saveexec_b64 s[4:5], s[0:1]
	s_cbranch_execz .LBB0_13
; %bb.12:
	v_pk_add_f16 v18, v4, v5
	v_pk_add_f16 v18, v18, v10
	;; [unrolled: 1-line block ×13, first 2 shown]
	v_pk_add_f16 v17, v5, v17 neg_lo:[0,1] neg_hi:[0,1]
	s_mov_b32 s16, 0xb770
	v_pk_add_f16 v18, v15, v10
	v_pk_add_f16 v10, v10, v15 neg_lo:[0,1] neg_hi:[0,1]
	v_pk_add_f16 v15, v14, v11
	v_pk_add_f16 v5, v11, v14 neg_lo:[0,1] neg_hi:[0,1]
	;; [unrolled: 2-line block ×3, first 2 shown]
	s_movk_i32 s12, 0x3b15
	s_mov_b32 s14, 0xba95
	v_pk_mul_f16 v9, v17, s16 op_sel_hi:[1,0]
	v_pk_add_f16 v14, v13, v6
	v_pk_add_f16 v6, v6, v13 neg_lo:[0,1] neg_hi:[0,1]
	v_pk_add_f16 v13, v12, v7
	v_pk_add_f16 v7, v7, v12 neg_lo:[0,1] neg_hi:[0,1]
	s_movk_i32 s7, 0x388b
	v_pk_fma_f16 v12, v19, s12, v9 op_sel:[0,0,1] op_sel_hi:[1,0,0]
	v_pk_fma_f16 v9, v19, s12, v9 op_sel:[0,0,1] op_sel_hi:[1,0,0] neg_lo:[0,0,1] neg_hi:[0,0,1]
	s_mov_b32 s15, 0xffff
	v_pk_mul_f16 v22, v10, s14 op_sel_hi:[1,0]
	v_bfi_b32 v21, s15, v12, v9
	v_pk_fma_f16 v23, v18, s7, v22 op_sel:[0,0,1] op_sel_hi:[1,0,0]
	v_pk_fma_f16 v22, v18, s7, v22 op_sel:[0,0,1] op_sel_hi:[1,0,0] neg_lo:[0,0,1] neg_hi:[0,0,1]
	s_mov_b32 s13, 0xbbf1
	v_pk_add_f16 v21, v4, v21
	v_bfi_b32 v24, s15, v23, v22
	s_movk_i32 s0, 0x2fb7
	v_pk_add_f16 v21, v24, v21
	v_pk_mul_f16 v24, v5, s13 op_sel_hi:[1,0]
	v_pk_fma_f16 v25, v15, s0, v24 op_sel:[0,0,1] op_sel_hi:[1,0,0]
	v_pk_fma_f16 v24, v15, s0, v24 op_sel:[0,0,1] op_sel_hi:[1,0,0] neg_lo:[0,0,1] neg_hi:[0,0,1]
	s_mov_b32 s11, 0xbb7b
	v_bfi_b32 v26, s15, v25, v24
	s_mov_b32 s10, 0xb5ac
	v_pk_add_f16 v21, v26, v21
	v_pk_mul_f16 v26, v6, s11 op_sel_hi:[1,0]
	v_pk_fma_f16 v27, v14, s10, v26 op_sel:[0,0,1] op_sel_hi:[1,0,0]
	v_pk_fma_f16 v26, v14, s10, v26 op_sel:[0,0,1] op_sel_hi:[1,0,0] neg_lo:[0,0,1] neg_hi:[0,0,1]
	s_mov_b32 s6, 0xb94e
	v_bfi_b32 v28, s15, v27, v26
	s_mov_b32 s1, 0xb9fd
	v_pk_add_f16 v21, v28, v21
	v_pk_mul_f16 v28, v7, s6 op_sel_hi:[1,0]
	v_pk_fma_f16 v29, v13, s1, v28 op_sel:[0,0,1] op_sel_hi:[1,0,0]
	v_pk_fma_f16 v28, v13, s1, v28 op_sel:[0,0,1] op_sel_hi:[1,0,0] neg_lo:[0,0,1] neg_hi:[0,0,1]
	v_bfi_b32 v30, s15, v29, v28
	s_mov_b32 s17, 0xb3a8
	v_pk_add_f16 v21, v30, v21
	s_mov_b32 s18, 0xbbc4
	v_pk_mul_f16 v30, v8, s17 op_sel_hi:[1,0]
	v_pk_fma_f16 v31, v11, s18, v30 op_sel:[0,0,1] op_sel_hi:[1,0,0]
	v_pk_fma_f16 v30, v11, s18, v30 op_sel:[0,0,1] op_sel_hi:[1,0,0] neg_lo:[0,0,1] neg_hi:[0,0,1]
	v_bfi_b32 v32, s15, v31, v30
	v_pk_add_f16 v21, v32, v21
	v_mad_u32_u24 v32, v0, 48, v16
	ds_write2_b32 v32, v20, v21 offset1:1
	s_movk_i32 s19, 0x3bf1
	v_mul_f16_sdwa v20, v19, s0 dst_sel:DWORD dst_unused:UNUSED_PAD src0_sel:WORD_1 src1_sel:DWORD
	s_movk_i32 s23, 0x33a8
	v_fma_f16 v21, v17, s19, v20
	v_mul_f16_sdwa v33, v18, s18 dst_sel:DWORD dst_unused:UNUSED_PAD src0_sel:WORD_1 src1_sel:DWORD
	v_add_f16_sdwa v21, v4, v21 dst_sel:DWORD dst_unused:UNUSED_PAD src0_sel:WORD_1 src1_sel:DWORD
	v_fma_f16 v34, v10, s23, v33
	v_add_f16_e32 v21, v34, v21
	v_mul_f16_sdwa v34, v15, s10 dst_sel:DWORD dst_unused:UNUSED_PAD src0_sel:WORD_1 src1_sel:DWORD
	v_fma_f16 v35, v5, s11, v34
	v_add_f16_e32 v21, v35, v21
	v_mul_f16_sdwa v35, v14, s12 dst_sel:DWORD dst_unused:UNUSED_PAD src0_sel:WORD_1 src1_sel:DWORD
	v_fma_f16 v36, v6, s16, v35
	v_add_f16_e32 v21, v36, v21
	s_movk_i32 s20, 0x3a95
	v_mul_f16_sdwa v36, v13, s7 dst_sel:DWORD dst_unused:UNUSED_PAD src0_sel:WORD_1 src1_sel:DWORD
	v_fma_f16 v37, v7, s20, v36
	v_add_f16_e32 v21, v37, v21
	s_movk_i32 s22, 0x394e
	v_mul_f16_sdwa v37, v11, s1 dst_sel:DWORD dst_unused:UNUSED_PAD src0_sel:WORD_1 src1_sel:DWORD
	v_fma_f16 v38, v8, s22, v37
	v_add_f16_e32 v21, v38, v21
	v_mul_f16_sdwa v38, v17, s13 dst_sel:DWORD dst_unused:UNUSED_PAD src0_sel:WORD_1 src1_sel:DWORD
	v_fma_f16 v39, v19, s0, v38
	v_mul_f16_sdwa v40, v10, s17 dst_sel:DWORD dst_unused:UNUSED_PAD src0_sel:WORD_1 src1_sel:DWORD
	v_add_f16_e32 v39, v4, v39
	v_fma_f16 v41, v18, s18, v40
	s_movk_i32 s24, 0x3b7b
	v_add_f16_e32 v39, v41, v39
	v_mul_f16_sdwa v41, v5, s24 dst_sel:DWORD dst_unused:UNUSED_PAD src0_sel:WORD_1 src1_sel:DWORD
	v_fma_f16 v42, v15, s10, v41
	s_movk_i32 s21, 0x3770
	v_add_f16_e32 v39, v42, v39
	v_mul_f16_sdwa v42, v6, s21 dst_sel:DWORD dst_unused:UNUSED_PAD src0_sel:WORD_1 src1_sel:DWORD
	v_fma_f16 v43, v14, s12, v42
	v_add_f16_e32 v39, v43, v39
	v_mul_f16_sdwa v43, v7, s14 dst_sel:DWORD dst_unused:UNUSED_PAD src0_sel:WORD_1 src1_sel:DWORD
	v_fma_f16 v44, v13, s7, v43
	;; [unrolled: 3-line block ×4, first 2 shown]
	v_mul_f16_sdwa v47, v18, s10 dst_sel:DWORD dst_unused:UNUSED_PAD src0_sel:WORD_1 src1_sel:DWORD
	v_add_f16_sdwa v46, v4, v46 dst_sel:DWORD dst_unused:UNUSED_PAD src0_sel:WORD_1 src1_sel:DWORD
	v_fma_f16 v48, v10, s24, v47
	v_add_f16_e32 v46, v48, v46
	v_mul_f16_sdwa v48, v15, s18 dst_sel:DWORD dst_unused:UNUSED_PAD src0_sel:WORD_1 src1_sel:DWORD
	v_fma_f16 v49, v5, s23, v48
	v_add_f16_e32 v46, v49, v46
	v_mul_f16_sdwa v49, v14, s1 dst_sel:DWORD dst_unused:UNUSED_PAD src0_sel:WORD_1 src1_sel:DWORD
	v_fma_f16 v50, v6, s6, v49
	v_add_f16_e32 v46, v50, v46
	v_mul_f16_sdwa v50, v13, s0 dst_sel:DWORD dst_unused:UNUSED_PAD src0_sel:WORD_1 src1_sel:DWORD
	v_fma_f16 v51, v7, s13, v50
	v_add_f16_e32 v46, v51, v46
	v_mul_f16_sdwa v51, v11, s12 dst_sel:DWORD dst_unused:UNUSED_PAD src0_sel:WORD_1 src1_sel:DWORD
	v_fma_f16 v52, v8, s16, v51
	v_add_f16_e32 v46, v52, v46
	v_mul_f16_sdwa v52, v17, s14 dst_sel:DWORD dst_unused:UNUSED_PAD src0_sel:WORD_1 src1_sel:DWORD
	v_fma_f16 v53, v19, s7, v52
	v_mul_f16_sdwa v54, v10, s11 dst_sel:DWORD dst_unused:UNUSED_PAD src0_sel:WORD_1 src1_sel:DWORD
	v_add_f16_e32 v53, v4, v53
	v_fma_f16 v55, v18, s10, v54
	v_add_f16_e32 v53, v55, v53
	v_mul_f16_sdwa v55, v5, s17 dst_sel:DWORD dst_unused:UNUSED_PAD src0_sel:WORD_1 src1_sel:DWORD
	v_fma_f16 v56, v15, s18, v55
	v_add_f16_e32 v53, v56, v53
	v_mul_f16_sdwa v56, v6, s22 dst_sel:DWORD dst_unused:UNUSED_PAD src0_sel:WORD_1 src1_sel:DWORD
	;; [unrolled: 3-line block ×4, first 2 shown]
	v_fma_f16 v59, v11, s12, v58
	v_add_f16_e32 v53, v59, v53
	v_pack_b32_f16 v21, v39, v21
	v_pack_b32_f16 v39, v53, v46
	ds_write2_b32 v32, v39, v21 offset0:2 offset1:3
	v_mul_f16_sdwa v21, v19, s1 dst_sel:DWORD dst_unused:UNUSED_PAD src0_sel:WORD_1 src1_sel:DWORD
	v_fma_f16 v39, v17, s22, v21
	v_mul_f16_sdwa v46, v18, s0 dst_sel:DWORD dst_unused:UNUSED_PAD src0_sel:WORD_1 src1_sel:DWORD
	v_add_f16_sdwa v39, v4, v39 dst_sel:DWORD dst_unused:UNUSED_PAD src0_sel:WORD_1 src1_sel:DWORD
	v_fma_f16 v53, v10, s13, v46
	v_add_f16_e32 v39, v53, v39
	v_mul_f16_sdwa v53, v15, s7 dst_sel:DWORD dst_unused:UNUSED_PAD src0_sel:WORD_1 src1_sel:DWORD
	v_fma_f16 v59, v5, s20, v53
	v_add_f16_e32 v39, v59, v39
	v_mul_f16_sdwa v59, v14, s18 dst_sel:DWORD dst_unused:UNUSED_PAD src0_sel:WORD_1 src1_sel:DWORD
	;; [unrolled: 3-line block ×5, first 2 shown]
	v_fma_f16 v63, v19, s1, v62
	v_mul_f16_sdwa v64, v10, s19 dst_sel:DWORD dst_unused:UNUSED_PAD src0_sel:WORD_1 src1_sel:DWORD
	v_add_f16_e32 v63, v4, v63
	v_fma_f16 v65, v18, s0, v64
	v_add_f16_e32 v63, v65, v63
	v_mul_f16_sdwa v65, v5, s14 dst_sel:DWORD dst_unused:UNUSED_PAD src0_sel:WORD_1 src1_sel:DWORD
	v_fma_f16 v66, v15, s7, v65
	v_add_f16_e32 v63, v66, v63
	v_mul_f16_sdwa v66, v6, s23 dst_sel:DWORD dst_unused:UNUSED_PAD src0_sel:WORD_1 src1_sel:DWORD
	;; [unrolled: 3-line block ×5, first 2 shown]
	v_fma_f16 v70, v17, s24, v69
	v_mul_f16_sdwa v71, v18, s1 dst_sel:DWORD dst_unused:UNUSED_PAD src0_sel:WORD_1 src1_sel:DWORD
	v_add_f16_sdwa v70, v4, v70 dst_sel:DWORD dst_unused:UNUSED_PAD src0_sel:WORD_1 src1_sel:DWORD
	v_fma_f16 v72, v10, s6, v71
	v_add_f16_e32 v70, v72, v70
	v_mul_f16_sdwa v72, v15, s12 dst_sel:DWORD dst_unused:UNUSED_PAD src0_sel:WORD_1 src1_sel:DWORD
	v_fma_f16 v73, v5, s16, v72
	v_add_f16_e32 v70, v73, v70
	v_mul_f16_sdwa v73, v14, s0 dst_sel:DWORD dst_unused:UNUSED_PAD src0_sel:WORD_1 src1_sel:DWORD
	;; [unrolled: 3-line block ×5, first 2 shown]
	v_fma_f16 v77, v19, s10, v76
	v_mul_f16_sdwa v78, v10, s22 dst_sel:DWORD dst_unused:UNUSED_PAD src0_sel:WORD_1 src1_sel:DWORD
	v_add_f16_e32 v77, v4, v77
	v_fma_f16 v79, v18, s1, v78
	v_add_f16_e32 v77, v79, v77
	v_mul_f16_sdwa v79, v5, s21 dst_sel:DWORD dst_unused:UNUSED_PAD src0_sel:WORD_1 src1_sel:DWORD
	v_fma_f16 v80, v15, s12, v79
	v_add_f16_e32 v77, v80, v77
	v_mul_f16_sdwa v80, v6, s13 dst_sel:DWORD dst_unused:UNUSED_PAD src0_sel:WORD_1 src1_sel:DWORD
	;; [unrolled: 3-line block ×3, first 2 shown]
	v_fma_f16 v20, v17, s13, v20
	v_fma_f16 v82, v13, s18, v81
	v_add_f16_sdwa v20, v4, v20 dst_sel:DWORD dst_unused:UNUSED_PAD src0_sel:WORD_1 src1_sel:DWORD
	v_fma_f16 v33, v10, s17, v33
	v_add_f16_e32 v77, v82, v77
	v_mul_f16_sdwa v82, v8, s20 dst_sel:DWORD dst_unused:UNUSED_PAD src0_sel:WORD_1 src1_sel:DWORD
	v_add_f16_e32 v20, v33, v20
	v_fma_f16 v33, v5, s24, v34
	v_fma_f16 v83, v11, s7, v82
	v_add_f16_e32 v20, v33, v20
	v_fma_f16 v33, v6, s21, v35
	v_add_f16_e32 v77, v83, v77
	v_add_f16_e32 v20, v33, v20
	v_fma_f16 v33, v7, s14, v36
	v_pack_b32_f16 v39, v63, v39
	v_pack_b32_f16 v63, v77, v70
	v_fma_f16 v21, v17, s6, v21
	v_add_f16_e32 v20, v33, v20
	v_fma_f16 v33, v8, s6, v37
	ds_write2_b32 v32, v63, v39 offset0:4 offset1:5
	v_add_f16_sdwa v21, v4, v21 dst_sel:DWORD dst_unused:UNUSED_PAD src0_sel:WORD_1 src1_sel:DWORD
	v_fma_f16 v39, v10, s19, v46
	v_add_f16_e32 v20, v33, v20
	v_fma_f16 v33, v19, s0, -v38
	v_add_f16_e32 v21, v39, v21
	v_fma_f16 v39, v5, s14, v53
	v_add_f16_e32 v33, v4, v33
	v_fma_f16 v34, v18, s18, -v40
	v_add_f16_e32 v21, v39, v21
	;; [unrolled: 4-line block ×5, first 2 shown]
	v_fma_f16 v39, v19, s1, -v62
	v_add_f16_e32 v33, v34, v33
	v_fma_f16 v34, v11, s1, -v44
	v_add_f16_e32 v39, v4, v39
	;; [unrolled: 2-line block ×3, first 2 shown]
	v_fma_f16 v34, v17, s14, v45
	v_add_f16_e32 v39, v46, v39
	v_fma_f16 v46, v15, s7, -v65
	v_add_f16_sdwa v34, v4, v34 dst_sel:DWORD dst_unused:UNUSED_PAD src0_sel:WORD_1 src1_sel:DWORD
	v_fma_f16 v35, v10, s11, v47
	v_add_f16_e32 v39, v46, v39
	v_fma_f16 v46, v14, s18, -v66
	v_add_f16_e32 v34, v35, v34
	v_fma_f16 v35, v5, s17, v48
	v_add_f16_e32 v39, v46, v39
	v_fma_f16 v46, v13, s12, -v67
	v_add_f16_e32 v34, v35, v34
	;; [unrolled: 4-line block ×3, first 2 shown]
	v_fma_f16 v35, v7, s19, v50
	v_add_f16_e32 v39, v46, v39
	v_fma_f16 v46, v17, s11, v69
	v_add_f16_e32 v34, v35, v34
	v_fma_f16 v35, v8, s21, v51
	v_add_f16_sdwa v46, v4, v46 dst_sel:DWORD dst_unused:UNUSED_PAD src0_sel:WORD_1 src1_sel:DWORD
	v_fma_f16 v53, v10, s22, v71
	v_add_f16_e32 v34, v35, v34
	v_fma_f16 v35, v19, s7, -v52
	v_add_f16_e32 v46, v53, v46
	v_fma_f16 v53, v5, s21, v72
	v_add_f16_e32 v35, v4, v35
	v_fma_f16 v36, v18, s10, -v54
	v_add_f16_e32 v46, v53, v46
	;; [unrolled: 4-line block ×5, first 2 shown]
	v_fma_f16 v53, v19, s10, -v76
	v_add_f16_e32 v35, v36, v35
	v_fma_f16 v36, v11, s12, -v58
	v_pk_mul_f16 v19, v19, s18 op_sel_hi:[1,0]
	v_fma_f16 v59, v18, s1, -v78
	v_add_f16_e32 v35, v36, v35
	v_pk_fma_f16 v36, v17, s17, v19 op_sel:[0,0,1] op_sel_hi:[1,0,0]
	v_pk_mul_f16 v18, v18, s12 op_sel_hi:[1,0]
	v_add_f16_e32 v53, v4, v53
	v_alignbit_b32 v37, s0, v36, 16
	v_pk_fma_f16 v38, v10, s21, v18 op_sel:[0,0,1] op_sel_hi:[1,0,0]
	v_add_f16_e32 v53, v59, v53
	v_fma_f16 v59, v15, s12, -v79
	v_pk_add_f16 v37, v4, v37
	v_alignbit_b32 v40, s0, v38, 16
	v_pk_mul_f16 v15, v15, s1 op_sel_hi:[1,0]
	v_pk_add_f16 v37, v40, v37
	v_pk_fma_f16 v40, v5, s6, v15 op_sel:[0,0,1] op_sel_hi:[1,0,0]
	v_add_f16_e32 v53, v59, v53
	v_fma_f16 v59, v14, s0, -v80
	v_alignbit_b32 v41, s0, v40, 16
	v_pk_mul_f16 v14, v14, s7 op_sel_hi:[1,0]
	v_pk_add_f16 v37, v41, v37
	v_pk_fma_f16 v41, v6, s20, v14 op_sel:[0,0,1] op_sel_hi:[1,0,0]
	v_add_f16_e32 v53, v59, v53
	v_fma_f16 v59, v13, s18, -v81
	;; [unrolled: 6-line block ×3, first 2 shown]
	v_alignbit_b32 v43, s0, v42, 16
	v_pk_mul_f16 v11, v11, s0 op_sel_hi:[1,0]
	v_pk_add_f16 v37, v43, v37
	v_pk_fma_f16 v43, v8, s19, v11 op_sel:[0,0,1] op_sel_hi:[1,0,0]
	v_alignbit_b32 v44, s0, v43, 16
	v_pk_add_f16 v37, v44, v37
	v_alignbit_b32 v44, s0, v4, 16
	v_pk_fma_f16 v17, v17, s17, v19 op_sel:[0,0,1] op_sel_hi:[1,0,0] neg_lo:[1,0,0] neg_hi:[1,0,0]
	v_pk_add_f16 v36, v44, v36
	v_pk_fma_f16 v10, v10, s21, v18 op_sel:[0,0,1] op_sel_hi:[1,0,0] neg_lo:[1,0,0] neg_hi:[1,0,0]
	v_pk_add_f16 v17, v4, v17 op_sel:[1,0] op_sel_hi:[0,1]
	v_pk_add_f16 v36, v38, v36
	v_pk_add_f16 v10, v10, v17
	v_pk_fma_f16 v5, v5, s6, v15 op_sel:[0,0,1] op_sel_hi:[1,0,0] neg_lo:[1,0,0] neg_hi:[1,0,0]
	v_pk_add_f16 v36, v40, v36
	v_pk_add_f16 v5, v5, v10
	v_pk_fma_f16 v6, v6, s20, v14 op_sel:[0,0,1] op_sel_hi:[1,0,0] neg_lo:[1,0,0] neg_hi:[1,0,0]
	v_pk_add_f16 v36, v41, v36
	v_pk_add_f16 v5, v6, v5
	v_pk_fma_f16 v6, v7, s11, v13 op_sel:[0,0,1] op_sel_hi:[1,0,0] neg_lo:[1,0,0] neg_hi:[1,0,0]
	v_pk_add_f16 v36, v42, v36
	v_pk_add_f16 v5, v6, v5
	v_pk_fma_f16 v6, v8, s19, v11 op_sel:[0,0,1] op_sel_hi:[1,0,0] neg_lo:[1,0,0] neg_hi:[1,0,0]
	v_pk_add_f16 v36, v43, v36
	v_pk_add_f16 v5, v6, v5
	v_add_f16_e32 v53, v59, v53
	v_alignbit_b32 v6, v36, v5, 16
	v_pack_b32_f16 v5, v37, v5
	ds_write2_b32 v32, v5, v6 offset0:6 offset1:7
	v_pack_b32_f16 v5, v53, v46
	v_pack_b32_f16 v6, v39, v21
	ds_write2_b32 v32, v6, v5 offset0:8 offset1:9
	v_pack_b32_f16 v5, v35, v34
	v_pack_b32_f16 v6, v33, v20
	ds_write2_b32 v32, v6, v5 offset0:10 offset1:11
	v_bfi_b32 v5, s15, v9, v12
	v_pk_add_f16 v4, v4, v5
	v_bfi_b32 v5, s15, v22, v23
	v_pk_add_f16 v4, v5, v4
	;; [unrolled: 2-line block ×6, first 2 shown]
	ds_write_b32 v32, v4 offset:48
.LBB0_13:
	s_or_b64 exec, exec, s[4:5]
	s_movk_i32 s0, 0x4f
	v_add_u32_e32 v14, 0x75, v0
	v_mul_lo_u16_sdwa v4, v0, s0 dst_sel:DWORD dst_unused:UNUSED_PAD src0_sel:BYTE_0 src1_sel:DWORD
	v_lshrrev_b16_e32 v15, 10, v4
	v_mul_lo_u16_sdwa v5, v14, s0 dst_sel:DWORD dst_unused:UNUSED_PAD src0_sel:BYTE_0 src1_sel:DWORD
	v_mul_lo_u16_e32 v4, 13, v15
	v_lshrrev_b16_e32 v18, 10, v5
	v_sub_u16_e32 v17, v0, v4
	v_mov_b32_e32 v6, 3
	v_mul_lo_u16_e32 v7, 13, v18
	v_lshlrev_b32_sdwa v4, v6, v17 dst_sel:DWORD dst_unused:UNUSED_PAD src0_sel:DWORD src1_sel:BYTE_0
	v_sub_u16_e32 v19, v14, v7
	s_waitcnt lgkmcnt(0)
	s_barrier
	global_load_dwordx2 v[4:5], v4, s[8:9]
	v_lshlrev_b32_sdwa v6, v6, v19 dst_sel:DWORD dst_unused:UNUSED_PAD src0_sel:DWORD src1_sel:BYTE_0
	global_load_dwordx2 v[6:7], v6, s[8:9]
	v_add_u32_e32 v21, 0x600, v16
	ds_read2_b32 v[8:9], v16 offset1:117
	ds_read_u16 v20, v16 offset:2
	ds_read2_b32 v[10:11], v1 offset0:106 offset1:223
	ds_read2_b32 v[12:13], v21 offset0:84 offset1:201
	v_mov_b32_e32 v22, 2
	v_mul_u32_u24_e32 v15, 0x9c, v15
	v_mul_u32_u24_e32 v18, 0x9c, v18
	s_waitcnt lgkmcnt(1)
	v_lshrrev_b32_e32 v24, 16, v10
	v_lshlrev_b32_sdwa v17, v22, v17 dst_sel:DWORD dst_unused:UNUSED_PAD src0_sel:DWORD src1_sel:BYTE_0
	v_lshlrev_b32_sdwa v19, v22, v19 dst_sel:DWORD dst_unused:UNUSED_PAD src0_sel:DWORD src1_sel:BYTE_0
	s_waitcnt lgkmcnt(0)
	v_lshrrev_b32_e32 v26, 16, v12
	v_lshrrev_b32_e32 v25, 16, v11
	;; [unrolled: 1-line block ×3, first 2 shown]
	v_add3_u32 v15, 0, v15, v17
	v_add3_u32 v17, 0, v18, v19
	v_lshrrev_b32_e32 v23, 16, v9
	s_mov_b32 s4, 0xbaee
	s_movk_i32 s5, 0x3aee
	s_movk_i32 s0, 0xa5
	s_waitcnt vmcnt(0)
	s_barrier
	s_mov_b32 s6, 0xffff
	v_mul_f16_sdwa v18, v4, v24 dst_sel:DWORD dst_unused:UNUSED_PAD src0_sel:WORD_1 src1_sel:DWORD
	v_mul_f16_sdwa v19, v4, v10 dst_sel:DWORD dst_unused:UNUSED_PAD src0_sel:WORD_1 src1_sel:DWORD
	;; [unrolled: 1-line block ×8, first 2 shown]
	v_fma_f16 v10, v4, v10, v18
	v_fma_f16 v4, v4, v24, -v19
	v_fma_f16 v12, v5, v12, v28
	v_fma_f16 v5, v5, v26, -v29
	;; [unrolled: 2-line block ×4, first 2 shown]
	v_add_f16_e32 v19, v10, v12
	v_sub_f16_e32 v24, v4, v5
	v_add_f16_e32 v25, v20, v4
	v_add_f16_e32 v4, v4, v5
	;; [unrolled: 1-line block ×3, first 2 shown]
	v_sub_f16_e32 v10, v10, v12
	v_add_f16_e32 v27, v11, v13
	v_sub_f16_e32 v28, v6, v7
	v_add_f16_e32 v29, v23, v6
	v_add_f16_e32 v6, v6, v7
	v_fma_f16 v8, v19, -0.5, v8
	v_fma_f16 v4, v4, -0.5, v20
	v_add_f16_e32 v26, v9, v11
	v_sub_f16_e32 v11, v11, v13
	v_add_f16_e32 v12, v18, v12
	v_add_f16_e32 v5, v25, v5
	v_fma_f16 v9, v27, -0.5, v9
	v_fma_f16 v6, v6, -0.5, v23
	v_fma_f16 v18, v24, s4, v8
	v_fma_f16 v8, v24, s5, v8
	v_fma_f16 v19, v10, s5, v4
	v_fma_f16 v4, v10, s4, v4
	v_add_f16_e32 v13, v26, v13
	v_add_f16_e32 v7, v29, v7
	v_fma_f16 v10, v28, s4, v9
	v_fma_f16 v9, v28, s5, v9
	;; [unrolled: 1-line block ×4, first 2 shown]
	v_pack_b32_f16 v5, v12, v5
	v_pack_b32_f16 v11, v18, v19
	;; [unrolled: 1-line block ×6, first 2 shown]
	ds_write2_b32 v15, v5, v11 offset1:13
	ds_write_b32 v15, v4 offset:104
	ds_write2_b32 v17, v7, v8 offset1:13
	ds_write_b32 v17, v6 offset:104
	v_mul_lo_u16_sdwa v4, v0, s0 dst_sel:DWORD dst_unused:UNUSED_PAD src0_sel:BYTE_0 src1_sel:DWORD
	v_sub_u16_sdwa v5, v0, v4 dst_sel:DWORD dst_unused:UNUSED_PAD src0_sel:DWORD src1_sel:BYTE_1
	v_lshrrev_b16_e32 v5, 1, v5
	v_and_b32_e32 v5, 0x7f, v5
	v_add_u16_sdwa v4, v5, v4 dst_sel:DWORD dst_unused:UNUSED_PAD src0_sel:DWORD src1_sel:BYTE_1
	v_lshrrev_b16_e32 v4, 5, v4
	v_and_b32_e32 v15, 7, v4
	v_mul_lo_u16_e32 v4, 39, v15
	v_sub_u16_e32 v17, v0, v4
	v_mov_b32_e32 v4, 5
	v_mul_u32_u24_sdwa v4, v17, v4 dst_sel:DWORD dst_unused:UNUSED_PAD src0_sel:BYTE_0 src1_sel:DWORD
	v_lshlrev_b32_e32 v8, 2, v4
	s_waitcnt lgkmcnt(0)
	s_barrier
	global_load_dwordx4 v[4:7], v8, s[8:9] offset:104
	global_load_dword v18, v8, s[8:9] offset:120
	ds_read2_b32 v[8:9], v16 offset1:117
	ds_read2_b32 v[10:11], v1 offset0:106 offset1:223
	ds_read2_b32 v[12:13], v21 offset0:84 offset1:201
	s_movk_i32 s0, 0x3a8
	s_waitcnt lgkmcnt(0)
	v_lshrrev_b32_e32 v20, 16, v9
	v_lshrrev_b32_e32 v24, 16, v11
	;; [unrolled: 1-line block ×6, first 2 shown]
	s_waitcnt vmcnt(0)
	s_barrier
	v_mul_f16_sdwa v27, v4, v20 dst_sel:DWORD dst_unused:UNUSED_PAD src0_sel:WORD_1 src1_sel:DWORD
	v_mul_f16_sdwa v28, v4, v9 dst_sel:DWORD dst_unused:UNUSED_PAD src0_sel:WORD_1 src1_sel:DWORD
	;; [unrolled: 1-line block ×10, first 2 shown]
	v_fma_f16 v9, v4, v9, v27
	v_fma_f16 v4, v4, v20, -v28
	v_fma_f16 v11, v6, v11, v31
	v_fma_f16 v6, v6, v24, -v32
	;; [unrolled: 2-line block ×5, first 2 shown]
	v_sub_f16_e32 v28, v6, v18
	v_add_f16_e32 v29, v4, v6
	v_add_f16_e32 v6, v6, v18
	;; [unrolled: 1-line block ×4, first 2 shown]
	v_sub_f16_e32 v24, v5, v7
	v_add_f16_e32 v25, v19, v5
	v_add_f16_e32 v5, v5, v7
	;; [unrolled: 1-line block ×4, first 2 shown]
	v_sub_f16_e32 v11, v11, v13
	v_fma_f16 v4, v6, -0.5, v4
	v_sub_f16_e32 v10, v10, v12
	v_add_f16_e32 v12, v20, v12
	v_fma_f16 v8, v23, -0.5, v8
	v_fma_f16 v5, v5, -0.5, v19
	;; [unrolled: 1-line block ×3, first 2 shown]
	v_fma_f16 v20, v11, s5, v4
	v_fma_f16 v4, v11, s4, v4
	v_add_f16_e32 v7, v25, v7
	v_fma_f16 v6, v24, s4, v8
	v_fma_f16 v8, v24, s5, v8
	;; [unrolled: 1-line block ×6, first 2 shown]
	v_mul_f16_e32 v24, 0xbaee, v20
	v_mul_f16_e32 v25, 0xbaee, v4
	v_mul_f16_e32 v20, 0.5, v20
	v_mul_f16_e32 v4, -0.5, v4
	v_add_f16_e32 v13, v26, v13
	v_add_f16_e32 v18, v29, v18
	v_fma_f16 v24, v10, 0.5, v24
	v_fma_f16 v25, v9, -0.5, v25
	v_fma_f16 v10, v10, s5, v20
	v_fma_f16 v4, v9, s5, v4
	v_add_f16_e32 v11, v12, v13
	v_add_f16_e32 v23, v7, v18
	;; [unrolled: 1-line block ×6, first 2 shown]
	v_sub_f16_e32 v12, v12, v13
	v_sub_f16_e32 v6, v6, v24
	;; [unrolled: 1-line block ×6, first 2 shown]
	v_mul_u32_u24_sdwa v5, v15, s0 dst_sel:DWORD dst_unused:UNUSED_PAD src0_sel:WORD_0 src1_sel:DWORD
	v_lshlrev_b32_sdwa v13, v22, v17 dst_sel:DWORD dst_unused:UNUSED_PAD src0_sel:DWORD src1_sel:BYTE_0
	v_add3_u32 v5, 0, v5, v13
	v_pack_b32_f16 v11, v11, v23
	v_pack_b32_f16 v13, v20, v27
	;; [unrolled: 1-line block ×6, first 2 shown]
	ds_write2_b32 v5, v11, v13 offset1:39
	ds_write2_b32 v5, v9, v7 offset0:78 offset1:117
	ds_write2_b32 v5, v6, v4 offset0:156 offset1:195
	v_lshlrev_b32_e32 v4, 1, v0
	v_mov_b32_e32 v5, 0
	v_lshlrev_b64 v[6:7], 2, v[4:5]
	v_lshlrev_b32_e32 v4, 1, v14
	v_mov_b32_e32 v10, s9
	v_add_co_u32_e64 v6, s[0:1], s8, v6
	v_lshlrev_b64 v[8:9], 2, v[4:5]
	v_addc_co_u32_e64 v7, s[0:1], v10, v7, s[0:1]
	v_add_co_u32_e64 v8, s[0:1], s8, v8
	s_waitcnt lgkmcnt(0)
	s_barrier
	global_load_dwordx2 v[6:7], v[6:7], off offset:884
	v_addc_co_u32_e64 v9, s[0:1], v10, v9, s[0:1]
	global_load_dwordx2 v[8:9], v[8:9], off offset:884
	ds_read2_b32 v[10:11], v16 offset1:117
	ds_read2_b32 v[12:13], v1 offset0:106 offset1:223
	ds_read2_b32 v[14:15], v21 offset0:84 offset1:201
	s_waitcnt vmcnt(0) lgkmcnt(0)
	s_barrier
	v_lshrrev_b32_e32 v22, 16, v10
	v_lshrrev_b32_e32 v17, 16, v12
	;; [unrolled: 1-line block ×6, first 2 shown]
	v_cmp_ne_u32_e64 s[0:1], 0, v0
	v_mul_f16_sdwa v23, v6, v17 dst_sel:DWORD dst_unused:UNUSED_PAD src0_sel:WORD_1 src1_sel:DWORD
	v_mul_f16_sdwa v24, v6, v12 dst_sel:DWORD dst_unused:UNUSED_PAD src0_sel:WORD_1 src1_sel:DWORD
	;; [unrolled: 1-line block ×8, first 2 shown]
	v_fma_f16 v12, v6, v12, v23
	v_fma_f16 v6, v6, v17, -v24
	v_fma_f16 v14, v7, v14, v25
	v_fma_f16 v7, v7, v18, -v26
	;; [unrolled: 2-line block ×4, first 2 shown]
	v_add_f16_e32 v18, v12, v14
	v_sub_f16_e32 v19, v6, v7
	v_add_f16_e32 v20, v6, v22
	v_add_f16_e32 v6, v6, v7
	;; [unrolled: 1-line block ×3, first 2 shown]
	v_sub_f16_e32 v12, v12, v14
	v_add_f16_e32 v24, v13, v15
	v_fma_f16 v10, v18, -0.5, v10
	v_fma_f16 v6, v6, -0.5, v22
	v_add_f16_e32 v23, v11, v13
	v_fma_f16 v18, v19, s4, v10
	v_fma_f16 v10, v19, s5, v10
	;; [unrolled: 1-line block ×4, first 2 shown]
	v_fma_f16 v11, v24, -0.5, v11
	v_sub_f16_e32 v12, v8, v9
	v_add_f16_e32 v7, v20, v7
	v_fma_f16 v20, v12, s4, v11
	v_fma_f16 v11, v12, s5, v11
	v_add_f16_e32 v12, v4, v8
	v_add_f16_e32 v8, v8, v9
	;; [unrolled: 1-line block ×5, first 2 shown]
	v_fma_f16 v4, v8, -0.5, v4
	v_sub_f16_e32 v8, v13, v15
	v_fma_f16 v9, v8, s5, v4
	v_pack_b32_f16 v7, v14, v7
	v_pack_b32_f16 v6, v10, v6
	;; [unrolled: 1-line block ×3, first 2 shown]
	v_fma_f16 v4, v8, s4, v4
	v_pack_b32_f16 v8, v18, v19
	ds_write2_b32 v16, v7, v10 offset1:117
	v_pack_b32_f16 v7, v20, v9
	ds_write2_b32 v1, v8, v7 offset0:106 offset1:223
	v_pack_b32_f16 v1, v11, v4
	ds_write2_b32 v21, v6, v1 offset0:84 offset1:201
	s_waitcnt lgkmcnt(0)
	s_barrier
	ds_read_b32 v4, v16
	v_lshlrev_b32_e32 v1, 2, v0
	v_sub_u32_e32 v8, 0, v1
                                        ; implicit-def: $vgpr11
                                        ; implicit-def: $vgpr9
                                        ; implicit-def: $vgpr10
                                        ; implicit-def: $vgpr6_vgpr7
	s_and_saveexec_b64 s[4:5], s[0:1]
	s_xor_b64 s[4:5], exec, s[4:5]
	s_cbranch_execz .LBB0_15
; %bb.14:
	v_mov_b32_e32 v1, v5
	v_lshlrev_b64 v[5:6], 2, v[0:1]
	v_mov_b32_e32 v7, s9
	v_add_co_u32_e64 v5, s[0:1], s8, v5
	v_addc_co_u32_e64 v6, s[0:1], v7, v6, s[0:1]
	global_load_dword v5, v[5:6], off offset:2756
	ds_read_b32 v6, v8 offset:2808
	s_waitcnt lgkmcnt(0)
	v_pk_add_f16 v7, v4, v6 neg_lo:[0,1] neg_hi:[0,1]
	v_pk_add_f16 v4, v6, v4
	v_bfi_b32 v6, s6, v7, v4
	v_bfi_b32 v4, s6, v4, v7
	v_pk_mul_f16 v6, v6, 0.5 op_sel_hi:[1,0]
	v_pk_mul_f16 v7, v4, 0.5 op_sel_hi:[1,0]
	s_waitcnt vmcnt(0)
	v_pk_mul_f16 v9, v5, v6 op_sel:[1,0]
	v_pk_mul_f16 v5, v5, v6 op_sel_hi:[0,1]
	v_pk_fma_f16 v4, v4, 0.5, v9 op_sel_hi:[1,0,1]
	v_sub_f16_e32 v6, v7, v9
	v_sub_f16_sdwa v7, v9, v7 dst_sel:DWORD dst_unused:UNUSED_PAD src0_sel:WORD_1 src1_sel:WORD_1
	v_pk_add_f16 v11, v4, v5 op_sel:[0,1] op_sel_hi:[1,0]
	v_pk_add_f16 v4, v4, v5 op_sel:[0,1] op_sel_hi:[1,0] neg_lo:[0,1] neg_hi:[0,1]
	v_sub_f16_sdwa v9, v6, v5 dst_sel:DWORD dst_unused:UNUSED_PAD src0_sel:DWORD src1_sel:WORD_1
	v_sub_f16_e32 v10, v7, v5
	v_mov_b32_e32 v7, v1
	v_bfi_b32 v11, s6, v11, v4
	v_mov_b32_e32 v6, v0
                                        ; implicit-def: $vgpr4
.LBB0_15:
	s_andn2_saveexec_b64 s[0:1], s[4:5]
	s_cbranch_execz .LBB0_17
; %bb.16:
	v_mov_b32_e32 v10, 0
	ds_read_u16 v1, v10 offset:1406
	s_waitcnt lgkmcnt(1)
	v_alignbit_b32 v5, s0, v4, 16
	v_sub_f16_sdwa v9, v4, v4 dst_sel:DWORD dst_unused:UNUSED_PAD src0_sel:DWORD src1_sel:WORD_1
	v_mov_b32_e32 v6, 0
	v_pk_add_f16 v4, v5, v4
	v_mov_b32_e32 v7, 0
	s_waitcnt lgkmcnt(0)
	v_xor_b32_e32 v1, 0x8000, v1
	v_pack_b32_f16 v11, v4, 0
	ds_write_b16 v10, v1 offset:1406
.LBB0_17:
	s_or_b64 exec, exec, s[0:1]
	s_add_u32 s0, s8, 0xac4
	s_waitcnt lgkmcnt(0)
	v_lshlrev_b64 v[4:5], 2, v[6:7]
	s_addc_u32 s1, s9, 0
	v_mov_b32_e32 v1, s1
	v_add_co_u32_e64 v6, s[0:1], s0, v4
	v_addc_co_u32_e64 v7, s[0:1], v1, v5, s[0:1]
	global_load_dword v1, v[6:7], off offset:468
	global_load_dword v12, v[6:7], off offset:936
	ds_write_b16 v8, v10 offset:2810
	ds_write_b32 v16, v11
	ds_write_b16 v8, v9 offset:2808
	ds_read_b32 v6, v16 offset:468
	ds_read_b32 v7, v8 offset:2340
	s_mov_b32 s0, 0xffff
	s_waitcnt lgkmcnt(0)
	v_pk_add_f16 v9, v6, v7 neg_lo:[0,1] neg_hi:[0,1]
	v_pk_add_f16 v6, v6, v7
	v_bfi_b32 v7, s0, v9, v6
	v_bfi_b32 v6, s0, v6, v9
	v_pk_mul_f16 v7, v7, 0.5 op_sel_hi:[1,0]
	v_pk_mul_f16 v6, v6, 0.5 op_sel_hi:[1,0]
	s_waitcnt vmcnt(1)
	v_pk_fma_f16 v9, v1, v7, v6 op_sel:[1,0,0]
	v_pk_mul_f16 v10, v1, v7 op_sel_hi:[0,1]
	v_pk_fma_f16 v11, v1, v7, v6 op_sel:[1,0,0] neg_lo:[1,0,0] neg_hi:[1,0,0]
	v_pk_fma_f16 v1, v1, v7, v6 op_sel:[1,0,0] neg_lo:[0,0,1] neg_hi:[0,0,1]
	v_pk_add_f16 v6, v9, v10 op_sel:[0,1] op_sel_hi:[1,0]
	v_pk_add_f16 v7, v9, v10 op_sel:[0,1] op_sel_hi:[1,0] neg_lo:[0,1] neg_hi:[0,1]
	v_pk_add_f16 v9, v11, v10 op_sel:[0,1] op_sel_hi:[1,0] neg_lo:[0,1] neg_hi:[0,1]
	;; [unrolled: 1-line block ×3, first 2 shown]
	v_bfi_b32 v6, s0, v6, v7
	v_bfi_b32 v1, s0, v9, v1
	ds_write_b32 v16, v6 offset:468
	ds_write_b32 v8, v1 offset:2340
	ds_read_b32 v1, v16 offset:936
	ds_read_b32 v6, v8 offset:1872
	s_waitcnt lgkmcnt(0)
	v_pk_add_f16 v7, v1, v6 neg_lo:[0,1] neg_hi:[0,1]
	v_pk_add_f16 v1, v1, v6
	v_bfi_b32 v6, s0, v7, v1
	v_bfi_b32 v1, s0, v1, v7
	v_pk_mul_f16 v6, v6, 0.5 op_sel_hi:[1,0]
	v_pk_mul_f16 v1, v1, 0.5 op_sel_hi:[1,0]
	s_waitcnt vmcnt(0)
	v_pk_fma_f16 v7, v12, v6, v1 op_sel:[1,0,0]
	v_pk_mul_f16 v9, v12, v6 op_sel_hi:[0,1]
	v_pk_fma_f16 v10, v12, v6, v1 op_sel:[1,0,0] neg_lo:[1,0,0] neg_hi:[1,0,0]
	v_pk_fma_f16 v1, v12, v6, v1 op_sel:[1,0,0] neg_lo:[0,0,1] neg_hi:[0,0,1]
	v_pk_add_f16 v6, v7, v9 op_sel:[0,1] op_sel_hi:[1,0]
	v_pk_add_f16 v7, v7, v9 op_sel:[0,1] op_sel_hi:[1,0] neg_lo:[0,1] neg_hi:[0,1]
	v_pk_add_f16 v10, v10, v9 op_sel:[0,1] op_sel_hi:[1,0] neg_lo:[0,1] neg_hi:[0,1]
	;; [unrolled: 1-line block ×3, first 2 shown]
	v_bfi_b32 v6, s0, v6, v7
	v_bfi_b32 v1, s0, v10, v1
	ds_write_b32 v16, v6 offset:936
	ds_write_b32 v8, v1 offset:1872
	s_waitcnt lgkmcnt(0)
	s_barrier
	s_and_saveexec_b64 s[0:1], vcc
	s_cbranch_execz .LBB0_20
; %bb.18:
	v_mov_b32_e32 v8, s3
	v_add_co_u32_e32 v1, vcc, s2, v2
	v_addc_co_u32_e32 v2, vcc, v8, v3, vcc
	ds_read2_b32 v[6:7], v16 offset1:117
	v_add_co_u32_e32 v3, vcc, v1, v4
	v_addc_co_u32_e32 v4, vcc, v2, v5, vcc
	v_add_u32_e32 v5, 0x200, v16
	ds_read2_b32 v[8:9], v5 offset0:106 offset1:223
	v_add_u32_e32 v5, 0x600, v16
	s_movk_i32 s0, 0x74
	ds_read2_b32 v[10:11], v5 offset0:84 offset1:201
	v_cmp_eq_u32_e32 vcc, s0, v0
	s_waitcnt lgkmcnt(2)
	global_store_dword v[3:4], v6, off
	global_store_dword v[3:4], v7, off offset:468
	s_waitcnt lgkmcnt(1)
	global_store_dword v[3:4], v8, off offset:936
	global_store_dword v[3:4], v9, off offset:1404
	s_waitcnt lgkmcnt(0)
	global_store_dword v[3:4], v10, off offset:1872
	global_store_dword v[3:4], v11, off offset:2340
	s_and_b64 exec, exec, vcc
	s_cbranch_execz .LBB0_20
; %bb.19:
	v_mov_b32_e32 v0, 0
	ds_read_b32 v0, v0 offset:2808
	s_waitcnt lgkmcnt(0)
	global_store_dword v[1:2], v0, off offset:2808
.LBB0_20:
	s_endpgm
	.section	.rodata,"a",@progbits
	.p2align	6, 0x0
	.amdhsa_kernel fft_rtc_back_len702_factors_13_3_6_3_wgs_117_tpt_117_halfLds_half_ip_CI_unitstride_sbrr_R2C_dirReg
		.amdhsa_group_segment_fixed_size 0
		.amdhsa_private_segment_fixed_size 0
		.amdhsa_kernarg_size 88
		.amdhsa_user_sgpr_count 6
		.amdhsa_user_sgpr_private_segment_buffer 1
		.amdhsa_user_sgpr_dispatch_ptr 0
		.amdhsa_user_sgpr_queue_ptr 0
		.amdhsa_user_sgpr_kernarg_segment_ptr 1
		.amdhsa_user_sgpr_dispatch_id 0
		.amdhsa_user_sgpr_flat_scratch_init 0
		.amdhsa_user_sgpr_private_segment_size 0
		.amdhsa_uses_dynamic_stack 0
		.amdhsa_system_sgpr_private_segment_wavefront_offset 0
		.amdhsa_system_sgpr_workgroup_id_x 1
		.amdhsa_system_sgpr_workgroup_id_y 0
		.amdhsa_system_sgpr_workgroup_id_z 0
		.amdhsa_system_sgpr_workgroup_info 0
		.amdhsa_system_vgpr_workitem_id 0
		.amdhsa_next_free_vgpr 84
		.amdhsa_next_free_sgpr 25
		.amdhsa_reserve_vcc 1
		.amdhsa_reserve_flat_scratch 0
		.amdhsa_float_round_mode_32 0
		.amdhsa_float_round_mode_16_64 0
		.amdhsa_float_denorm_mode_32 3
		.amdhsa_float_denorm_mode_16_64 3
		.amdhsa_dx10_clamp 1
		.amdhsa_ieee_mode 1
		.amdhsa_fp16_overflow 0
		.amdhsa_exception_fp_ieee_invalid_op 0
		.amdhsa_exception_fp_denorm_src 0
		.amdhsa_exception_fp_ieee_div_zero 0
		.amdhsa_exception_fp_ieee_overflow 0
		.amdhsa_exception_fp_ieee_underflow 0
		.amdhsa_exception_fp_ieee_inexact 0
		.amdhsa_exception_int_div_zero 0
	.end_amdhsa_kernel
	.text
.Lfunc_end0:
	.size	fft_rtc_back_len702_factors_13_3_6_3_wgs_117_tpt_117_halfLds_half_ip_CI_unitstride_sbrr_R2C_dirReg, .Lfunc_end0-fft_rtc_back_len702_factors_13_3_6_3_wgs_117_tpt_117_halfLds_half_ip_CI_unitstride_sbrr_R2C_dirReg
                                        ; -- End function
	.section	.AMDGPU.csdata,"",@progbits
; Kernel info:
; codeLenInByte = 6820
; NumSgprs: 29
; NumVgprs: 84
; ScratchSize: 0
; MemoryBound: 0
; FloatMode: 240
; IeeeMode: 1
; LDSByteSize: 0 bytes/workgroup (compile time only)
; SGPRBlocks: 3
; VGPRBlocks: 20
; NumSGPRsForWavesPerEU: 29
; NumVGPRsForWavesPerEU: 84
; Occupancy: 3
; WaveLimiterHint : 1
; COMPUTE_PGM_RSRC2:SCRATCH_EN: 0
; COMPUTE_PGM_RSRC2:USER_SGPR: 6
; COMPUTE_PGM_RSRC2:TRAP_HANDLER: 0
; COMPUTE_PGM_RSRC2:TGID_X_EN: 1
; COMPUTE_PGM_RSRC2:TGID_Y_EN: 0
; COMPUTE_PGM_RSRC2:TGID_Z_EN: 0
; COMPUTE_PGM_RSRC2:TIDIG_COMP_CNT: 0
	.type	__hip_cuid_d58e0eddb918980a,@object ; @__hip_cuid_d58e0eddb918980a
	.section	.bss,"aw",@nobits
	.globl	__hip_cuid_d58e0eddb918980a
__hip_cuid_d58e0eddb918980a:
	.byte	0                               ; 0x0
	.size	__hip_cuid_d58e0eddb918980a, 1

	.ident	"AMD clang version 19.0.0git (https://github.com/RadeonOpenCompute/llvm-project roc-6.4.0 25133 c7fe45cf4b819c5991fe208aaa96edf142730f1d)"
	.section	".note.GNU-stack","",@progbits
	.addrsig
	.addrsig_sym __hip_cuid_d58e0eddb918980a
	.amdgpu_metadata
---
amdhsa.kernels:
  - .args:
      - .actual_access:  read_only
        .address_space:  global
        .offset:         0
        .size:           8
        .value_kind:     global_buffer
      - .offset:         8
        .size:           8
        .value_kind:     by_value
      - .actual_access:  read_only
        .address_space:  global
        .offset:         16
        .size:           8
        .value_kind:     global_buffer
      - .actual_access:  read_only
        .address_space:  global
        .offset:         24
        .size:           8
        .value_kind:     global_buffer
      - .offset:         32
        .size:           8
        .value_kind:     by_value
      - .actual_access:  read_only
        .address_space:  global
        .offset:         40
        .size:           8
        .value_kind:     global_buffer
      - .actual_access:  read_only
        .address_space:  global
        .offset:         48
        .size:           8
        .value_kind:     global_buffer
      - .offset:         56
        .size:           4
        .value_kind:     by_value
      - .actual_access:  read_only
        .address_space:  global
        .offset:         64
        .size:           8
        .value_kind:     global_buffer
      - .actual_access:  read_only
        .address_space:  global
        .offset:         72
        .size:           8
        .value_kind:     global_buffer
      - .address_space:  global
        .offset:         80
        .size:           8
        .value_kind:     global_buffer
    .group_segment_fixed_size: 0
    .kernarg_segment_align: 8
    .kernarg_segment_size: 88
    .language:       OpenCL C
    .language_version:
      - 2
      - 0
    .max_flat_workgroup_size: 117
    .name:           fft_rtc_back_len702_factors_13_3_6_3_wgs_117_tpt_117_halfLds_half_ip_CI_unitstride_sbrr_R2C_dirReg
    .private_segment_fixed_size: 0
    .sgpr_count:     29
    .sgpr_spill_count: 0
    .symbol:         fft_rtc_back_len702_factors_13_3_6_3_wgs_117_tpt_117_halfLds_half_ip_CI_unitstride_sbrr_R2C_dirReg.kd
    .uniform_work_group_size: 1
    .uses_dynamic_stack: false
    .vgpr_count:     84
    .vgpr_spill_count: 0
    .wavefront_size: 64
amdhsa.target:   amdgcn-amd-amdhsa--gfx906
amdhsa.version:
  - 1
  - 2
...

	.end_amdgpu_metadata
